;; amdgpu-corpus repo=zjin-lcf/HeCBench kind=compiled arch=gfx906 opt=O3
	.amdgcn_target "amdgcn-amd-amdhsa--gfx906"
	.amdhsa_code_object_version 6
	.section	.text._Z9kernel_BSIfEvPKT_S2_Pmmm,"axG",@progbits,_Z9kernel_BSIfEvPKT_S2_Pmmm,comdat
	.protected	_Z9kernel_BSIfEvPKT_S2_Pmmm ; -- Begin function _Z9kernel_BSIfEvPKT_S2_Pmmm
	.globl	_Z9kernel_BSIfEvPKT_S2_Pmmm
	.p2align	8
	.type	_Z9kernel_BSIfEvPKT_S2_Pmmm,@function
_Z9kernel_BSIfEvPKT_S2_Pmmm:            ; @_Z9kernel_BSIfEvPKT_S2_Pmmm
; %bb.0:
	s_load_dword s0, s[4:5], 0x34
	s_load_dwordx4 s[8:11], s[4:5], 0x18
	v_mov_b32_e32 v1, 0
	s_waitcnt lgkmcnt(0)
	s_and_b32 s0, s0, 0xffff
	s_mul_i32 s6, s6, s0
	v_add_u32_e32 v0, s6, v0
	v_cmp_gt_u64_e32 vcc, s[8:9], v[0:1]
	s_and_saveexec_b64 s[0:1], vcc
	s_cbranch_execz .LBB0_6
; %bb.1:
	s_load_dwordx2 s[6:7], s[4:5], 0x10
	v_cmp_lt_u64_e64 s[0:1], s[10:11], 2
	v_mov_b32_e32 v2, 0
	v_mov_b32_e32 v3, 0
	s_and_b64 vcc, exec, s[0:1]
	s_cbranch_vccnz .LBB0_5
; %bb.2:
	s_load_dwordx4 s[0:3], s[4:5], 0x0
	v_lshlrev_b64 v[2:3], 2, v[0:1]
	v_mov_b32_e32 v6, s10
	v_mov_b32_e32 v7, s11
	s_waitcnt lgkmcnt(0)
	v_mov_b32_e32 v4, s3
	v_add_co_u32_e32 v2, vcc, s2, v2
	v_addc_co_u32_e32 v3, vcc, v4, v3, vcc
	global_load_dword v8, v[2:3], off
	v_mov_b32_e32 v2, 0
	v_mov_b32_e32 v4, s10
	s_mov_b64 s[2:3], 0
	v_mov_b32_e32 v3, 0
	v_mov_b32_e32 v9, s1
	;; [unrolled: 1-line block ×3, first 2 shown]
.LBB0_3:                                ; =>This Inner Loop Header: Depth=1
	v_lshrrev_b64 v[6:7], 1, v[6:7]
	v_add_co_u32_e32 v6, vcc, v6, v2
	v_addc_co_u32_e32 v7, vcc, v7, v3, vcc
	v_lshlrev_b64 v[10:11], 2, v[6:7]
	v_add_co_u32_e32 v10, vcc, s0, v10
	v_addc_co_u32_e32 v11, vcc, v9, v11, vcc
	global_load_dword v10, v[10:11], off
	s_waitcnt vmcnt(0)
	v_cmp_lt_f32_e32 vcc, v8, v10
	v_cndmask_b32_e32 v2, v6, v2, vcc
	v_cndmask_b32_e32 v4, v4, v6, vcc
	;; [unrolled: 1-line block ×4, first 2 shown]
	v_sub_co_u32_e32 v6, vcc, v4, v2
	v_subb_co_u32_e32 v7, vcc, v5, v3, vcc
	v_cmp_gt_u64_e32 vcc, 2, v[6:7]
	s_or_b64 s[2:3], vcc, s[2:3]
	s_andn2_b64 exec, exec, s[2:3]
	s_cbranch_execnz .LBB0_3
; %bb.4:
	s_or_b64 exec, exec, s[2:3]
.LBB0_5:
	v_lshlrev_b64 v[0:1], 3, v[0:1]
	s_waitcnt lgkmcnt(0)
	v_mov_b32_e32 v4, s7
	v_add_co_u32_e32 v0, vcc, s6, v0
	v_addc_co_u32_e32 v1, vcc, v4, v1, vcc
	global_store_dwordx2 v[0:1], v[2:3], off
.LBB0_6:
	s_endpgm
	.section	.rodata,"a",@progbits
	.p2align	6, 0x0
	.amdhsa_kernel _Z9kernel_BSIfEvPKT_S2_Pmmm
		.amdhsa_group_segment_fixed_size 0
		.amdhsa_private_segment_fixed_size 0
		.amdhsa_kernarg_size 296
		.amdhsa_user_sgpr_count 6
		.amdhsa_user_sgpr_private_segment_buffer 1
		.amdhsa_user_sgpr_dispatch_ptr 0
		.amdhsa_user_sgpr_queue_ptr 0
		.amdhsa_user_sgpr_kernarg_segment_ptr 1
		.amdhsa_user_sgpr_dispatch_id 0
		.amdhsa_user_sgpr_flat_scratch_init 0
		.amdhsa_user_sgpr_private_segment_size 0
		.amdhsa_uses_dynamic_stack 0
		.amdhsa_system_sgpr_private_segment_wavefront_offset 0
		.amdhsa_system_sgpr_workgroup_id_x 1
		.amdhsa_system_sgpr_workgroup_id_y 0
		.amdhsa_system_sgpr_workgroup_id_z 0
		.amdhsa_system_sgpr_workgroup_info 0
		.amdhsa_system_vgpr_workitem_id 0
		.amdhsa_next_free_vgpr 12
		.amdhsa_next_free_sgpr 12
		.amdhsa_reserve_vcc 1
		.amdhsa_reserve_flat_scratch 0
		.amdhsa_float_round_mode_32 0
		.amdhsa_float_round_mode_16_64 0
		.amdhsa_float_denorm_mode_32 3
		.amdhsa_float_denorm_mode_16_64 3
		.amdhsa_dx10_clamp 1
		.amdhsa_ieee_mode 1
		.amdhsa_fp16_overflow 0
		.amdhsa_exception_fp_ieee_invalid_op 0
		.amdhsa_exception_fp_denorm_src 0
		.amdhsa_exception_fp_ieee_div_zero 0
		.amdhsa_exception_fp_ieee_overflow 0
		.amdhsa_exception_fp_ieee_underflow 0
		.amdhsa_exception_fp_ieee_inexact 0
		.amdhsa_exception_int_div_zero 0
	.end_amdhsa_kernel
	.section	.text._Z9kernel_BSIfEvPKT_S2_Pmmm,"axG",@progbits,_Z9kernel_BSIfEvPKT_S2_Pmmm,comdat
.Lfunc_end0:
	.size	_Z9kernel_BSIfEvPKT_S2_Pmmm, .Lfunc_end0-_Z9kernel_BSIfEvPKT_S2_Pmmm
                                        ; -- End function
	.set _Z9kernel_BSIfEvPKT_S2_Pmmm.num_vgpr, 12
	.set _Z9kernel_BSIfEvPKT_S2_Pmmm.num_agpr, 0
	.set _Z9kernel_BSIfEvPKT_S2_Pmmm.numbered_sgpr, 12
	.set _Z9kernel_BSIfEvPKT_S2_Pmmm.num_named_barrier, 0
	.set _Z9kernel_BSIfEvPKT_S2_Pmmm.private_seg_size, 0
	.set _Z9kernel_BSIfEvPKT_S2_Pmmm.uses_vcc, 1
	.set _Z9kernel_BSIfEvPKT_S2_Pmmm.uses_flat_scratch, 0
	.set _Z9kernel_BSIfEvPKT_S2_Pmmm.has_dyn_sized_stack, 0
	.set _Z9kernel_BSIfEvPKT_S2_Pmmm.has_recursion, 0
	.set _Z9kernel_BSIfEvPKT_S2_Pmmm.has_indirect_call, 0
	.section	.AMDGPU.csdata,"",@progbits
; Kernel info:
; codeLenInByte = 284
; TotalNumSgprs: 16
; NumVgprs: 12
; ScratchSize: 0
; MemoryBound: 0
; FloatMode: 240
; IeeeMode: 1
; LDSByteSize: 0 bytes/workgroup (compile time only)
; SGPRBlocks: 1
; VGPRBlocks: 2
; NumSGPRsForWavesPerEU: 16
; NumVGPRsForWavesPerEU: 12
; Occupancy: 10
; WaveLimiterHint : 0
; COMPUTE_PGM_RSRC2:SCRATCH_EN: 0
; COMPUTE_PGM_RSRC2:USER_SGPR: 6
; COMPUTE_PGM_RSRC2:TRAP_HANDLER: 0
; COMPUTE_PGM_RSRC2:TGID_X_EN: 1
; COMPUTE_PGM_RSRC2:TGID_Y_EN: 0
; COMPUTE_PGM_RSRC2:TGID_Z_EN: 0
; COMPUTE_PGM_RSRC2:TIDIG_COMP_CNT: 0
	.section	.text._Z10kernel_BS2IfEvPKT_S2_Pmmm,"axG",@progbits,_Z10kernel_BS2IfEvPKT_S2_Pmmm,comdat
	.protected	_Z10kernel_BS2IfEvPKT_S2_Pmmm ; -- Begin function _Z10kernel_BS2IfEvPKT_S2_Pmmm
	.globl	_Z10kernel_BS2IfEvPKT_S2_Pmmm
	.p2align	8
	.type	_Z10kernel_BS2IfEvPKT_S2_Pmmm,@function
_Z10kernel_BS2IfEvPKT_S2_Pmmm:          ; @_Z10kernel_BS2IfEvPKT_S2_Pmmm
; %bb.0:
	s_load_dword s7, s[4:5], 0x34
	s_load_dwordx4 s[0:3], s[4:5], 0x18
	v_mov_b32_e32 v1, 0
	s_waitcnt lgkmcnt(0)
	s_and_b32 s7, s7, 0xffff
	s_mul_i32 s6, s6, s7
	v_add_u32_e32 v0, s6, v0
	v_cmp_gt_u64_e32 vcc, s[0:1], v[0:1]
	s_and_saveexec_b64 s[0:1], vcc
	s_cbranch_execz .LBB1_11
; %bb.1:
	s_load_dwordx4 s[8:11], s[4:5], 0x0
	s_load_dwordx2 s[0:1], s[4:5], 0x10
	s_mov_b32 s4, -1
.LBB1_2:                                ; =>This Inner Loop Header: Depth=1
	s_mov_b32 s6, s4
	s_add_i32 s4, s4, 1
	s_lshr_b64 s[12:13], s[2:3], s4
	s_cmp_lg_u64 s[12:13], 0
	s_cbranch_scc1 .LBB1_2
; %bb.3:
	v_lshlrev_b64 v[2:3], 2, v[0:1]
	s_waitcnt lgkmcnt(0)
	v_mov_b32_e32 v4, s11
	v_add_co_u32_e32 v2, vcc, s10, v2
	v_addc_co_u32_e32 v3, vcc, v4, v3, vcc
	global_load_dword v6, v[2:3], off
	s_lshl_b64 s[4:5], 1, s6
	s_lshl_b64 s[10:11], s[4:5], 2
	s_add_u32 s10, s8, s10
	s_addc_u32 s11, s9, s11
	s_load_dword s7, s[10:11], 0x0
	v_mov_b32_e32 v2, s5
	v_mov_b32_e32 v4, s4
	s_cmp_eq_u32 s6, 0
	s_waitcnt vmcnt(0) lgkmcnt(0)
	v_cmp_le_f32_e32 vcc, s7, v6
	v_cndmask_b32_e32 v3, 0, v2, vcc
	v_cndmask_b32_e32 v2, 0, v4, vcc
	s_cbranch_scc1 .LBB1_10
.LBB1_4:                                ; =>This Inner Loop Header: Depth=1
	s_lshr_b64 s[6:7], s[4:5], 1
	v_or_b32_e32 v5, s7, v3
	v_or_b32_e32 v4, s6, v2
	v_cmp_gt_u64_e32 vcc, s[2:3], v[4:5]
	s_and_saveexec_b64 s[10:11], vcc
	s_cbranch_execz .LBB1_8
; %bb.5:                                ;   in Loop: Header=BB1_4 Depth=1
	v_lshlrev_b64 v[7:8], 2, v[4:5]
	v_mov_b32_e32 v9, s9
	v_add_co_u32_e32 v7, vcc, s8, v7
	v_addc_co_u32_e32 v8, vcc, v9, v8, vcc
	global_load_dword v7, v[7:8], off
	s_waitcnt vmcnt(0)
	v_cmp_ge_f32_e32 vcc, v6, v7
	s_and_saveexec_b64 s[12:13], vcc
; %bb.6:                                ;   in Loop: Header=BB1_4 Depth=1
	v_mov_b32_e32 v2, v4
	v_mov_b32_e32 v3, v5
; %bb.7:                                ;   in Loop: Header=BB1_4 Depth=1
	s_or_b64 exec, exec, s[12:13]
.LBB1_8:                                ;   in Loop: Header=BB1_4 Depth=1
	s_or_b64 exec, exec, s[10:11]
	v_cmp_gt_u64_e64 s[4:5], s[4:5], 3
	s_and_b64 vcc, exec, s[4:5]
	s_cbranch_vccz .LBB1_10
; %bb.9:                                ;   in Loop: Header=BB1_4 Depth=1
	s_mov_b64 s[4:5], s[6:7]
	s_branch .LBB1_4
.LBB1_10:
	v_lshlrev_b64 v[0:1], 3, v[0:1]
	v_mov_b32_e32 v4, s1
	v_add_co_u32_e32 v0, vcc, s0, v0
	v_addc_co_u32_e32 v1, vcc, v4, v1, vcc
	global_store_dwordx2 v[0:1], v[2:3], off
.LBB1_11:
	s_endpgm
	.section	.rodata,"a",@progbits
	.p2align	6, 0x0
	.amdhsa_kernel _Z10kernel_BS2IfEvPKT_S2_Pmmm
		.amdhsa_group_segment_fixed_size 0
		.amdhsa_private_segment_fixed_size 0
		.amdhsa_kernarg_size 296
		.amdhsa_user_sgpr_count 6
		.amdhsa_user_sgpr_private_segment_buffer 1
		.amdhsa_user_sgpr_dispatch_ptr 0
		.amdhsa_user_sgpr_queue_ptr 0
		.amdhsa_user_sgpr_kernarg_segment_ptr 1
		.amdhsa_user_sgpr_dispatch_id 0
		.amdhsa_user_sgpr_flat_scratch_init 0
		.amdhsa_user_sgpr_private_segment_size 0
		.amdhsa_uses_dynamic_stack 0
		.amdhsa_system_sgpr_private_segment_wavefront_offset 0
		.amdhsa_system_sgpr_workgroup_id_x 1
		.amdhsa_system_sgpr_workgroup_id_y 0
		.amdhsa_system_sgpr_workgroup_id_z 0
		.amdhsa_system_sgpr_workgroup_info 0
		.amdhsa_system_vgpr_workitem_id 0
		.amdhsa_next_free_vgpr 10
		.amdhsa_next_free_sgpr 14
		.amdhsa_reserve_vcc 1
		.amdhsa_reserve_flat_scratch 0
		.amdhsa_float_round_mode_32 0
		.amdhsa_float_round_mode_16_64 0
		.amdhsa_float_denorm_mode_32 3
		.amdhsa_float_denorm_mode_16_64 3
		.amdhsa_dx10_clamp 1
		.amdhsa_ieee_mode 1
		.amdhsa_fp16_overflow 0
		.amdhsa_exception_fp_ieee_invalid_op 0
		.amdhsa_exception_fp_denorm_src 0
		.amdhsa_exception_fp_ieee_div_zero 0
		.amdhsa_exception_fp_ieee_overflow 0
		.amdhsa_exception_fp_ieee_underflow 0
		.amdhsa_exception_fp_ieee_inexact 0
		.amdhsa_exception_int_div_zero 0
	.end_amdhsa_kernel
	.section	.text._Z10kernel_BS2IfEvPKT_S2_Pmmm,"axG",@progbits,_Z10kernel_BS2IfEvPKT_S2_Pmmm,comdat
.Lfunc_end1:
	.size	_Z10kernel_BS2IfEvPKT_S2_Pmmm, .Lfunc_end1-_Z10kernel_BS2IfEvPKT_S2_Pmmm
                                        ; -- End function
	.set _Z10kernel_BS2IfEvPKT_S2_Pmmm.num_vgpr, 10
	.set _Z10kernel_BS2IfEvPKT_S2_Pmmm.num_agpr, 0
	.set _Z10kernel_BS2IfEvPKT_S2_Pmmm.numbered_sgpr, 14
	.set _Z10kernel_BS2IfEvPKT_S2_Pmmm.num_named_barrier, 0
	.set _Z10kernel_BS2IfEvPKT_S2_Pmmm.private_seg_size, 0
	.set _Z10kernel_BS2IfEvPKT_S2_Pmmm.uses_vcc, 1
	.set _Z10kernel_BS2IfEvPKT_S2_Pmmm.uses_flat_scratch, 0
	.set _Z10kernel_BS2IfEvPKT_S2_Pmmm.has_dyn_sized_stack, 0
	.set _Z10kernel_BS2IfEvPKT_S2_Pmmm.has_recursion, 0
	.set _Z10kernel_BS2IfEvPKT_S2_Pmmm.has_indirect_call, 0
	.section	.AMDGPU.csdata,"",@progbits
; Kernel info:
; codeLenInByte = 316
; TotalNumSgprs: 18
; NumVgprs: 10
; ScratchSize: 0
; MemoryBound: 0
; FloatMode: 240
; IeeeMode: 1
; LDSByteSize: 0 bytes/workgroup (compile time only)
; SGPRBlocks: 2
; VGPRBlocks: 2
; NumSGPRsForWavesPerEU: 18
; NumVGPRsForWavesPerEU: 10
; Occupancy: 10
; WaveLimiterHint : 0
; COMPUTE_PGM_RSRC2:SCRATCH_EN: 0
; COMPUTE_PGM_RSRC2:USER_SGPR: 6
; COMPUTE_PGM_RSRC2:TRAP_HANDLER: 0
; COMPUTE_PGM_RSRC2:TGID_X_EN: 1
; COMPUTE_PGM_RSRC2:TGID_Y_EN: 0
; COMPUTE_PGM_RSRC2:TGID_Z_EN: 0
; COMPUTE_PGM_RSRC2:TIDIG_COMP_CNT: 0
	.section	.text._Z10kernel_BS3IfEvPKT_S2_Pmmm,"axG",@progbits,_Z10kernel_BS3IfEvPKT_S2_Pmmm,comdat
	.protected	_Z10kernel_BS3IfEvPKT_S2_Pmmm ; -- Begin function _Z10kernel_BS3IfEvPKT_S2_Pmmm
	.globl	_Z10kernel_BS3IfEvPKT_S2_Pmmm
	.p2align	8
	.type	_Z10kernel_BS3IfEvPKT_S2_Pmmm,@function
_Z10kernel_BS3IfEvPKT_S2_Pmmm:          ; @_Z10kernel_BS3IfEvPKT_S2_Pmmm
; %bb.0:
	s_load_dword s7, s[4:5], 0x34
	s_load_dwordx4 s[0:3], s[4:5], 0x18
	v_mov_b32_e32 v1, 0
	s_waitcnt lgkmcnt(0)
	s_and_b32 s7, s7, 0xffff
	s_mul_i32 s6, s6, s7
	v_add_u32_e32 v0, s6, v0
	v_cmp_gt_u64_e32 vcc, s[0:1], v[0:1]
	s_and_saveexec_b64 s[0:1], vcc
	s_cbranch_execz .LBB2_7
; %bb.1:
	s_load_dwordx4 s[8:11], s[4:5], 0x0
	s_load_dwordx2 s[6:7], s[4:5], 0x10
	s_mov_b32 s1, -1
.LBB2_2:                                ; =>This Inner Loop Header: Depth=1
	s_mov_b32 s0, s1
	s_add_i32 s1, s1, 1
	s_lshr_b64 s[4:5], s[2:3], s1
	s_cmp_lg_u64 s[4:5], 0
	s_cbranch_scc1 .LBB2_2
; %bb.3:
	v_lshlrev_b64 v[2:3], 2, v[0:1]
	s_waitcnt lgkmcnt(0)
	v_mov_b32_e32 v4, s11
	v_add_co_u32_e32 v2, vcc, s10, v2
	v_addc_co_u32_e32 v3, vcc, v4, v3, vcc
	global_load_dword v4, v[2:3], off
	s_lshl_b64 s[4:5], 1, s0
	s_lshl_b64 s[10:11], s[4:5], 2
	s_add_u32 s10, s8, s10
	s_addc_u32 s11, s9, s11
	s_load_dword s1, s[10:11], 0x0
	v_mov_b32_e32 v2, s5
	v_mov_b32_e32 v5, s4
	s_cmp_eq_u32 s0, 0
	s_waitcnt vmcnt(0) lgkmcnt(0)
	v_cmp_le_f32_e32 vcc, s1, v4
	v_cndmask_b32_e32 v3, 0, v2, vcc
	v_cndmask_b32_e32 v2, 0, v5, vcc
	s_cbranch_scc1 .LBB2_6
; %bb.4:
	v_mov_b32_e32 v5, s3
	v_mov_b32_e32 v6, s2
	;; [unrolled: 1-line block ×3, first 2 shown]
.LBB2_5:                                ; =>This Inner Loop Header: Depth=1
	s_lshr_b64 s[0:1], s[4:5], 1
	v_or_b32_e32 v9, s1, v3
	v_or_b32_e32 v8, s0, v2
	v_cmp_gt_u64_e32 vcc, s[2:3], v[8:9]
	v_cmp_gt_u64_e64 s[10:11], s[4:5], 3
	v_cndmask_b32_e32 v11, v5, v9, vcc
	v_cndmask_b32_e32 v10, v6, v8, vcc
	v_lshlrev_b64 v[10:11], 2, v[10:11]
	s_mov_b64 s[4:5], s[0:1]
	v_add_co_u32_e32 v10, vcc, s8, v10
	v_addc_co_u32_e32 v11, vcc, v7, v11, vcc
	global_load_dword v10, v[10:11], off
	s_and_b64 vcc, exec, s[10:11]
	s_waitcnt vmcnt(0)
	v_cmp_nge_f32_e64 s[0:1], v4, v10
	v_cndmask_b32_e64 v3, v9, v3, s[0:1]
	v_cndmask_b32_e64 v2, v8, v2, s[0:1]
	s_cbranch_vccnz .LBB2_5
.LBB2_6:
	v_lshlrev_b64 v[0:1], 3, v[0:1]
	v_mov_b32_e32 v4, s7
	v_add_co_u32_e32 v0, vcc, s6, v0
	v_addc_co_u32_e32 v1, vcc, v4, v1, vcc
	global_store_dwordx2 v[0:1], v[2:3], off
.LBB2_7:
	s_endpgm
	.section	.rodata,"a",@progbits
	.p2align	6, 0x0
	.amdhsa_kernel _Z10kernel_BS3IfEvPKT_S2_Pmmm
		.amdhsa_group_segment_fixed_size 0
		.amdhsa_private_segment_fixed_size 0
		.amdhsa_kernarg_size 296
		.amdhsa_user_sgpr_count 6
		.amdhsa_user_sgpr_private_segment_buffer 1
		.amdhsa_user_sgpr_dispatch_ptr 0
		.amdhsa_user_sgpr_queue_ptr 0
		.amdhsa_user_sgpr_kernarg_segment_ptr 1
		.amdhsa_user_sgpr_dispatch_id 0
		.amdhsa_user_sgpr_flat_scratch_init 0
		.amdhsa_user_sgpr_private_segment_size 0
		.amdhsa_uses_dynamic_stack 0
		.amdhsa_system_sgpr_private_segment_wavefront_offset 0
		.amdhsa_system_sgpr_workgroup_id_x 1
		.amdhsa_system_sgpr_workgroup_id_y 0
		.amdhsa_system_sgpr_workgroup_id_z 0
		.amdhsa_system_sgpr_workgroup_info 0
		.amdhsa_system_vgpr_workitem_id 0
		.amdhsa_next_free_vgpr 12
		.amdhsa_next_free_sgpr 12
		.amdhsa_reserve_vcc 1
		.amdhsa_reserve_flat_scratch 0
		.amdhsa_float_round_mode_32 0
		.amdhsa_float_round_mode_16_64 0
		.amdhsa_float_denorm_mode_32 3
		.amdhsa_float_denorm_mode_16_64 3
		.amdhsa_dx10_clamp 1
		.amdhsa_ieee_mode 1
		.amdhsa_fp16_overflow 0
		.amdhsa_exception_fp_ieee_invalid_op 0
		.amdhsa_exception_fp_denorm_src 0
		.amdhsa_exception_fp_ieee_div_zero 0
		.amdhsa_exception_fp_ieee_overflow 0
		.amdhsa_exception_fp_ieee_underflow 0
		.amdhsa_exception_fp_ieee_inexact 0
		.amdhsa_exception_int_div_zero 0
	.end_amdhsa_kernel
	.section	.text._Z10kernel_BS3IfEvPKT_S2_Pmmm,"axG",@progbits,_Z10kernel_BS3IfEvPKT_S2_Pmmm,comdat
.Lfunc_end2:
	.size	_Z10kernel_BS3IfEvPKT_S2_Pmmm, .Lfunc_end2-_Z10kernel_BS3IfEvPKT_S2_Pmmm
                                        ; -- End function
	.set _Z10kernel_BS3IfEvPKT_S2_Pmmm.num_vgpr, 12
	.set _Z10kernel_BS3IfEvPKT_S2_Pmmm.num_agpr, 0
	.set _Z10kernel_BS3IfEvPKT_S2_Pmmm.numbered_sgpr, 12
	.set _Z10kernel_BS3IfEvPKT_S2_Pmmm.num_named_barrier, 0
	.set _Z10kernel_BS3IfEvPKT_S2_Pmmm.private_seg_size, 0
	.set _Z10kernel_BS3IfEvPKT_S2_Pmmm.uses_vcc, 1
	.set _Z10kernel_BS3IfEvPKT_S2_Pmmm.uses_flat_scratch, 0
	.set _Z10kernel_BS3IfEvPKT_S2_Pmmm.has_dyn_sized_stack, 0
	.set _Z10kernel_BS3IfEvPKT_S2_Pmmm.has_recursion, 0
	.set _Z10kernel_BS3IfEvPKT_S2_Pmmm.has_indirect_call, 0
	.section	.AMDGPU.csdata,"",@progbits
; Kernel info:
; codeLenInByte = 320
; TotalNumSgprs: 16
; NumVgprs: 12
; ScratchSize: 0
; MemoryBound: 0
; FloatMode: 240
; IeeeMode: 1
; LDSByteSize: 0 bytes/workgroup (compile time only)
; SGPRBlocks: 1
; VGPRBlocks: 2
; NumSGPRsForWavesPerEU: 16
; NumVGPRsForWavesPerEU: 12
; Occupancy: 10
; WaveLimiterHint : 0
; COMPUTE_PGM_RSRC2:SCRATCH_EN: 0
; COMPUTE_PGM_RSRC2:USER_SGPR: 6
; COMPUTE_PGM_RSRC2:TRAP_HANDLER: 0
; COMPUTE_PGM_RSRC2:TGID_X_EN: 1
; COMPUTE_PGM_RSRC2:TGID_Y_EN: 0
; COMPUTE_PGM_RSRC2:TGID_Z_EN: 0
; COMPUTE_PGM_RSRC2:TIDIG_COMP_CNT: 0
	.section	.text._Z10kernel_BS4IfEvPKT_S2_Pmmm,"axG",@progbits,_Z10kernel_BS4IfEvPKT_S2_Pmmm,comdat
	.protected	_Z10kernel_BS4IfEvPKT_S2_Pmmm ; -- Begin function _Z10kernel_BS4IfEvPKT_S2_Pmmm
	.globl	_Z10kernel_BS4IfEvPKT_S2_Pmmm
	.p2align	8
	.type	_Z10kernel_BS4IfEvPKT_S2_Pmmm,@function
_Z10kernel_BS4IfEvPKT_S2_Pmmm:          ; @_Z10kernel_BS4IfEvPKT_S2_Pmmm
; %bb.0:
	s_load_dword s7, s[4:5], 0x34
	s_load_dwordx4 s[0:3], s[4:5], 0x18
	v_mov_b32_e32 v2, 0
	s_waitcnt lgkmcnt(0)
	s_and_b32 s7, s7, 0xffff
	s_mul_i32 s6, s6, s7
	v_add_u32_e32 v1, s6, v0
	v_cmp_gt_u64_e32 vcc, s[0:1], v[1:2]
	s_and_saveexec_b64 s[0:1], vcc
	s_cbranch_execz .LBB3_9
; %bb.1:
	s_load_dwordx4 s[8:11], s[4:5], 0x0
	s_load_dwordx2 s[6:7], s[4:5], 0x10
	v_cmp_eq_u32_e32 vcc, 0, v0
	s_and_saveexec_b64 s[0:1], vcc
	s_cbranch_execz .LBB3_5
; %bb.2:
	s_mov_b32 s4, -1
.LBB3_3:                                ; =>This Inner Loop Header: Depth=1
	s_mov_b32 s5, s4
	s_add_i32 s4, s4, 1
	s_lshr_b64 s[12:13], s[2:3], s4
	s_cmp_lg_u64 s[12:13], 0
	s_cbranch_scc1 .LBB3_3
; %bb.4:
	s_lshl_b64 s[4:5], 1, s5
	v_mov_b32_e32 v3, s4
	v_mov_b32_e32 v0, 0
	;; [unrolled: 1-line block ×3, first 2 shown]
	ds_write_b64 v0, v[3:4]
.LBB3_5:
	s_or_b64 exec, exec, s[0:1]
	v_lshlrev_b64 v[3:4], 2, v[1:2]
	s_waitcnt lgkmcnt(0)
	v_mov_b32_e32 v0, s11
	v_add_co_u32_e32 v3, vcc, s10, v3
	v_addc_co_u32_e32 v4, vcc, v0, v4, vcc
	s_barrier
	global_load_dword v0, v[3:4], off
	v_mov_b32_e32 v3, 0
	ds_read_b64 v[5:6], v3
	v_mov_b32_e32 v7, s9
	s_waitcnt lgkmcnt(0)
	v_lshlrev_b64 v[3:4], 2, v[5:6]
	v_add_co_u32_e32 v3, vcc, s8, v3
	v_addc_co_u32_e32 v4, vcc, v7, v4, vcc
	v_readfirstlane_b32 s0, v3
	v_readfirstlane_b32 s1, v4
	s_load_dword s0, s[0:1], 0x0
	v_cmp_gt_u64_e32 vcc, 2, v[5:6]
	s_and_b64 vcc, exec, vcc
	s_waitcnt vmcnt(0) lgkmcnt(0)
	v_cmp_le_f32_e64 s[0:1], s0, v0
	v_cndmask_b32_e64 v4, 0, v6, s[0:1]
	v_cndmask_b32_e64 v3, 0, v5, s[0:1]
	s_cbranch_vccnz .LBB3_8
; %bb.6:
	v_mov_b32_e32 v7, s3
	v_mov_b32_e32 v8, s2
	v_mov_b32_e32 v9, s9
.LBB3_7:                                ; =>This Inner Loop Header: Depth=1
	v_lshrrev_b64 v[10:11], 1, v[5:6]
	v_or_b32_e32 v13, v4, v11
	v_or_b32_e32 v12, v3, v10
	v_cmp_gt_u64_e32 vcc, s[2:3], v[12:13]
	v_cndmask_b32_e32 v15, v7, v13, vcc
	v_cndmask_b32_e32 v14, v8, v12, vcc
	v_lshlrev_b64 v[14:15], 2, v[14:15]
	v_add_co_u32_e32 v14, vcc, s8, v14
	v_addc_co_u32_e32 v15, vcc, v9, v15, vcc
	global_load_dword v14, v[14:15], off
	v_cmp_lt_u64_e32 vcc, 3, v[5:6]
	v_mov_b32_e32 v5, v10
	s_and_b64 vcc, exec, vcc
	v_mov_b32_e32 v6, v11
	s_waitcnt vmcnt(0)
	v_cmp_nge_f32_e64 s[0:1], v0, v14
	v_cndmask_b32_e64 v4, v13, v4, s[0:1]
	v_cndmask_b32_e64 v3, v12, v3, s[0:1]
	s_cbranch_vccnz .LBB3_7
.LBB3_8:
	v_lshlrev_b64 v[0:1], 3, v[1:2]
	v_mov_b32_e32 v2, s7
	v_add_co_u32_e32 v0, vcc, s6, v0
	v_addc_co_u32_e32 v1, vcc, v2, v1, vcc
	global_store_dwordx2 v[0:1], v[3:4], off
.LBB3_9:
	s_endpgm
	.section	.rodata,"a",@progbits
	.p2align	6, 0x0
	.amdhsa_kernel _Z10kernel_BS4IfEvPKT_S2_Pmmm
		.amdhsa_group_segment_fixed_size 8
		.amdhsa_private_segment_fixed_size 0
		.amdhsa_kernarg_size 296
		.amdhsa_user_sgpr_count 6
		.amdhsa_user_sgpr_private_segment_buffer 1
		.amdhsa_user_sgpr_dispatch_ptr 0
		.amdhsa_user_sgpr_queue_ptr 0
		.amdhsa_user_sgpr_kernarg_segment_ptr 1
		.amdhsa_user_sgpr_dispatch_id 0
		.amdhsa_user_sgpr_flat_scratch_init 0
		.amdhsa_user_sgpr_private_segment_size 0
		.amdhsa_uses_dynamic_stack 0
		.amdhsa_system_sgpr_private_segment_wavefront_offset 0
		.amdhsa_system_sgpr_workgroup_id_x 1
		.amdhsa_system_sgpr_workgroup_id_y 0
		.amdhsa_system_sgpr_workgroup_id_z 0
		.amdhsa_system_sgpr_workgroup_info 0
		.amdhsa_system_vgpr_workitem_id 0
		.amdhsa_next_free_vgpr 16
		.amdhsa_next_free_sgpr 14
		.amdhsa_reserve_vcc 1
		.amdhsa_reserve_flat_scratch 0
		.amdhsa_float_round_mode_32 0
		.amdhsa_float_round_mode_16_64 0
		.amdhsa_float_denorm_mode_32 3
		.amdhsa_float_denorm_mode_16_64 3
		.amdhsa_dx10_clamp 1
		.amdhsa_ieee_mode 1
		.amdhsa_fp16_overflow 0
		.amdhsa_exception_fp_ieee_invalid_op 0
		.amdhsa_exception_fp_denorm_src 0
		.amdhsa_exception_fp_ieee_div_zero 0
		.amdhsa_exception_fp_ieee_overflow 0
		.amdhsa_exception_fp_ieee_underflow 0
		.amdhsa_exception_fp_ieee_inexact 0
		.amdhsa_exception_int_div_zero 0
	.end_amdhsa_kernel
	.section	.text._Z10kernel_BS4IfEvPKT_S2_Pmmm,"axG",@progbits,_Z10kernel_BS4IfEvPKT_S2_Pmmm,comdat
.Lfunc_end3:
	.size	_Z10kernel_BS4IfEvPKT_S2_Pmmm, .Lfunc_end3-_Z10kernel_BS4IfEvPKT_S2_Pmmm
                                        ; -- End function
	.set _Z10kernel_BS4IfEvPKT_S2_Pmmm.num_vgpr, 16
	.set _Z10kernel_BS4IfEvPKT_S2_Pmmm.num_agpr, 0
	.set _Z10kernel_BS4IfEvPKT_S2_Pmmm.numbered_sgpr, 14
	.set _Z10kernel_BS4IfEvPKT_S2_Pmmm.num_named_barrier, 0
	.set _Z10kernel_BS4IfEvPKT_S2_Pmmm.private_seg_size, 0
	.set _Z10kernel_BS4IfEvPKT_S2_Pmmm.uses_vcc, 1
	.set _Z10kernel_BS4IfEvPKT_S2_Pmmm.uses_flat_scratch, 0
	.set _Z10kernel_BS4IfEvPKT_S2_Pmmm.has_dyn_sized_stack, 0
	.set _Z10kernel_BS4IfEvPKT_S2_Pmmm.has_recursion, 0
	.set _Z10kernel_BS4IfEvPKT_S2_Pmmm.has_indirect_call, 0
	.section	.AMDGPU.csdata,"",@progbits
; Kernel info:
; codeLenInByte = 404
; TotalNumSgprs: 18
; NumVgprs: 16
; ScratchSize: 0
; MemoryBound: 0
; FloatMode: 240
; IeeeMode: 1
; LDSByteSize: 8 bytes/workgroup (compile time only)
; SGPRBlocks: 2
; VGPRBlocks: 3
; NumSGPRsForWavesPerEU: 18
; NumVGPRsForWavesPerEU: 16
; Occupancy: 10
; WaveLimiterHint : 0
; COMPUTE_PGM_RSRC2:SCRATCH_EN: 0
; COMPUTE_PGM_RSRC2:USER_SGPR: 6
; COMPUTE_PGM_RSRC2:TRAP_HANDLER: 0
; COMPUTE_PGM_RSRC2:TGID_X_EN: 1
; COMPUTE_PGM_RSRC2:TGID_Y_EN: 0
; COMPUTE_PGM_RSRC2:TGID_Z_EN: 0
; COMPUTE_PGM_RSRC2:TIDIG_COMP_CNT: 0
	.section	.AMDGPU.gpr_maximums,"",@progbits
	.set amdgpu.max_num_vgpr, 0
	.set amdgpu.max_num_agpr, 0
	.set amdgpu.max_num_sgpr, 0
	.section	.AMDGPU.csdata,"",@progbits
	.type	__hip_cuid_f30ece505d13c46b,@object ; @__hip_cuid_f30ece505d13c46b
	.section	.bss,"aw",@nobits
	.globl	__hip_cuid_f30ece505d13c46b
__hip_cuid_f30ece505d13c46b:
	.byte	0                               ; 0x0
	.size	__hip_cuid_f30ece505d13c46b, 1

	.ident	"AMD clang version 22.0.0git (https://github.com/RadeonOpenCompute/llvm-project roc-7.2.4 26084 f58b06dce1f9c15707c5f808fd002e18c2accf7e)"
	.section	".note.GNU-stack","",@progbits
	.addrsig
	.addrsig_sym __hip_cuid_f30ece505d13c46b
	.amdgpu_metadata
---
amdhsa.kernels:
  - .args:
      - .actual_access:  read_only
        .address_space:  global
        .offset:         0
        .size:           8
        .value_kind:     global_buffer
      - .actual_access:  read_only
        .address_space:  global
        .offset:         8
        .size:           8
        .value_kind:     global_buffer
      - .actual_access:  write_only
        .address_space:  global
        .offset:         16
        .size:           8
        .value_kind:     global_buffer
      - .offset:         24
        .size:           8
        .value_kind:     by_value
      - .offset:         32
        .size:           8
        .value_kind:     by_value
      - .offset:         40
        .size:           4
        .value_kind:     hidden_block_count_x
      - .offset:         44
        .size:           4
        .value_kind:     hidden_block_count_y
      - .offset:         48
        .size:           4
        .value_kind:     hidden_block_count_z
      - .offset:         52
        .size:           2
        .value_kind:     hidden_group_size_x
      - .offset:         54
        .size:           2
        .value_kind:     hidden_group_size_y
      - .offset:         56
        .size:           2
        .value_kind:     hidden_group_size_z
      - .offset:         58
        .size:           2
        .value_kind:     hidden_remainder_x
      - .offset:         60
        .size:           2
        .value_kind:     hidden_remainder_y
      - .offset:         62
        .size:           2
        .value_kind:     hidden_remainder_z
      - .offset:         80
        .size:           8
        .value_kind:     hidden_global_offset_x
      - .offset:         88
        .size:           8
        .value_kind:     hidden_global_offset_y
      - .offset:         96
        .size:           8
        .value_kind:     hidden_global_offset_z
      - .offset:         104
        .size:           2
        .value_kind:     hidden_grid_dims
    .group_segment_fixed_size: 0
    .kernarg_segment_align: 8
    .kernarg_segment_size: 296
    .language:       OpenCL C
    .language_version:
      - 2
      - 0
    .max_flat_workgroup_size: 1024
    .name:           _Z9kernel_BSIfEvPKT_S2_Pmmm
    .private_segment_fixed_size: 0
    .sgpr_count:     16
    .sgpr_spill_count: 0
    .symbol:         _Z9kernel_BSIfEvPKT_S2_Pmmm.kd
    .uniform_work_group_size: 1
    .uses_dynamic_stack: false
    .vgpr_count:     12
    .vgpr_spill_count: 0
    .wavefront_size: 64
  - .args:
      - .actual_access:  read_only
        .address_space:  global
        .offset:         0
        .size:           8
        .value_kind:     global_buffer
      - .actual_access:  read_only
        .address_space:  global
        .offset:         8
        .size:           8
        .value_kind:     global_buffer
      - .actual_access:  write_only
        .address_space:  global
        .offset:         16
        .size:           8
        .value_kind:     global_buffer
      - .offset:         24
        .size:           8
        .value_kind:     by_value
      - .offset:         32
        .size:           8
        .value_kind:     by_value
      - .offset:         40
        .size:           4
        .value_kind:     hidden_block_count_x
      - .offset:         44
        .size:           4
        .value_kind:     hidden_block_count_y
      - .offset:         48
        .size:           4
        .value_kind:     hidden_block_count_z
      - .offset:         52
        .size:           2
        .value_kind:     hidden_group_size_x
      - .offset:         54
        .size:           2
        .value_kind:     hidden_group_size_y
      - .offset:         56
        .size:           2
        .value_kind:     hidden_group_size_z
      - .offset:         58
        .size:           2
        .value_kind:     hidden_remainder_x
      - .offset:         60
        .size:           2
        .value_kind:     hidden_remainder_y
      - .offset:         62
        .size:           2
        .value_kind:     hidden_remainder_z
      - .offset:         80
        .size:           8
        .value_kind:     hidden_global_offset_x
      - .offset:         88
        .size:           8
        .value_kind:     hidden_global_offset_y
      - .offset:         96
        .size:           8
        .value_kind:     hidden_global_offset_z
      - .offset:         104
        .size:           2
        .value_kind:     hidden_grid_dims
    .group_segment_fixed_size: 0
    .kernarg_segment_align: 8
    .kernarg_segment_size: 296
    .language:       OpenCL C
    .language_version:
      - 2
      - 0
    .max_flat_workgroup_size: 1024
    .name:           _Z10kernel_BS2IfEvPKT_S2_Pmmm
    .private_segment_fixed_size: 0
    .sgpr_count:     18
    .sgpr_spill_count: 0
    .symbol:         _Z10kernel_BS2IfEvPKT_S2_Pmmm.kd
    .uniform_work_group_size: 1
    .uses_dynamic_stack: false
    .vgpr_count:     10
    .vgpr_spill_count: 0
    .wavefront_size: 64
  - .args:
      - .actual_access:  read_only
        .address_space:  global
        .offset:         0
        .size:           8
        .value_kind:     global_buffer
      - .actual_access:  read_only
        .address_space:  global
        .offset:         8
        .size:           8
        .value_kind:     global_buffer
      - .actual_access:  write_only
        .address_space:  global
        .offset:         16
        .size:           8
        .value_kind:     global_buffer
      - .offset:         24
        .size:           8
        .value_kind:     by_value
      - .offset:         32
        .size:           8
        .value_kind:     by_value
      - .offset:         40
        .size:           4
        .value_kind:     hidden_block_count_x
      - .offset:         44
        .size:           4
        .value_kind:     hidden_block_count_y
      - .offset:         48
        .size:           4
        .value_kind:     hidden_block_count_z
      - .offset:         52
        .size:           2
        .value_kind:     hidden_group_size_x
      - .offset:         54
        .size:           2
        .value_kind:     hidden_group_size_y
      - .offset:         56
        .size:           2
        .value_kind:     hidden_group_size_z
      - .offset:         58
        .size:           2
        .value_kind:     hidden_remainder_x
      - .offset:         60
        .size:           2
        .value_kind:     hidden_remainder_y
      - .offset:         62
        .size:           2
        .value_kind:     hidden_remainder_z
      - .offset:         80
        .size:           8
        .value_kind:     hidden_global_offset_x
      - .offset:         88
        .size:           8
        .value_kind:     hidden_global_offset_y
      - .offset:         96
        .size:           8
        .value_kind:     hidden_global_offset_z
      - .offset:         104
        .size:           2
        .value_kind:     hidden_grid_dims
    .group_segment_fixed_size: 0
    .kernarg_segment_align: 8
    .kernarg_segment_size: 296
    .language:       OpenCL C
    .language_version:
      - 2
      - 0
    .max_flat_workgroup_size: 1024
    .name:           _Z10kernel_BS3IfEvPKT_S2_Pmmm
    .private_segment_fixed_size: 0
    .sgpr_count:     16
    .sgpr_spill_count: 0
    .symbol:         _Z10kernel_BS3IfEvPKT_S2_Pmmm.kd
    .uniform_work_group_size: 1
    .uses_dynamic_stack: false
    .vgpr_count:     12
    .vgpr_spill_count: 0
    .wavefront_size: 64
  - .args:
      - .actual_access:  read_only
        .address_space:  global
        .offset:         0
        .size:           8
        .value_kind:     global_buffer
      - .actual_access:  read_only
        .address_space:  global
        .offset:         8
        .size:           8
        .value_kind:     global_buffer
      - .actual_access:  write_only
        .address_space:  global
        .offset:         16
        .size:           8
        .value_kind:     global_buffer
      - .offset:         24
        .size:           8
        .value_kind:     by_value
      - .offset:         32
        .size:           8
        .value_kind:     by_value
      - .offset:         40
        .size:           4
        .value_kind:     hidden_block_count_x
      - .offset:         44
        .size:           4
        .value_kind:     hidden_block_count_y
      - .offset:         48
        .size:           4
        .value_kind:     hidden_block_count_z
      - .offset:         52
        .size:           2
        .value_kind:     hidden_group_size_x
      - .offset:         54
        .size:           2
        .value_kind:     hidden_group_size_y
      - .offset:         56
        .size:           2
        .value_kind:     hidden_group_size_z
      - .offset:         58
        .size:           2
        .value_kind:     hidden_remainder_x
      - .offset:         60
        .size:           2
        .value_kind:     hidden_remainder_y
      - .offset:         62
        .size:           2
        .value_kind:     hidden_remainder_z
      - .offset:         80
        .size:           8
        .value_kind:     hidden_global_offset_x
      - .offset:         88
        .size:           8
        .value_kind:     hidden_global_offset_y
      - .offset:         96
        .size:           8
        .value_kind:     hidden_global_offset_z
      - .offset:         104
        .size:           2
        .value_kind:     hidden_grid_dims
    .group_segment_fixed_size: 8
    .kernarg_segment_align: 8
    .kernarg_segment_size: 296
    .language:       OpenCL C
    .language_version:
      - 2
      - 0
    .max_flat_workgroup_size: 1024
    .name:           _Z10kernel_BS4IfEvPKT_S2_Pmmm
    .private_segment_fixed_size: 0
    .sgpr_count:     18
    .sgpr_spill_count: 0
    .symbol:         _Z10kernel_BS4IfEvPKT_S2_Pmmm.kd
    .uniform_work_group_size: 1
    .uses_dynamic_stack: false
    .vgpr_count:     16
    .vgpr_spill_count: 0
    .wavefront_size: 64
amdhsa.target:   amdgcn-amd-amdhsa--gfx906
amdhsa.version:
  - 1
  - 2
...

	.end_amdgpu_metadata
